;; amdgpu-corpus repo=zjin-lcf/HeCBench kind=compiled arch=gfx1250 opt=O3
	.amdgcn_target "amdgcn-amd-amdhsa--gfx1250"
	.amdhsa_code_object_version 6
	.text
	.protected	_Z6TwoOptiPKfS0_PiS1_S1_ ; -- Begin function _Z6TwoOptiPKfS0_PiS1_S1_
	.globl	_Z6TwoOptiPKfS0_PiS1_S1_
	.p2align	8
	.type	_Z6TwoOptiPKfS0_PiS1_S1_,@function
_Z6TwoOptiPKfS0_PiS1_S1_:               ; @_Z6TwoOptiPKfS0_PiS1_S1_
; %bb.0:
	s_clause 0x1
	s_load_b32 s14, s[0:1], 0x0
	s_load_b128 s[4:7], s[0:1], 0x18
	s_bfe_u32 s2, ttmp6, 0x4000c
	s_and_b32 s3, ttmp6, 15
	s_add_co_i32 s2, s2, 1
	s_getreg_b32 s8, hwreg(HW_REG_IB_STS2, 6, 4)
	s_mul_i32 s2, ttmp9, s2
	s_load_b64 s[12:13], s[0:1], 0x28
	s_add_co_i32 s3, s3, s2
	s_cmp_eq_u32 s8, 0
	s_mov_b32 s27, 0
	s_cselect_b32 s28, ttmp9, s3
	s_wait_kmcnt 0x0
	s_mul_i32 s2, s14, 3
	s_ashr_i32 s15, s14, 31
	s_add_co_i32 s2, s2, 33
	s_lshl_b64 s[22:23], s[14:15], 2
	s_ashr_i32 s3, s2, 31
	s_delay_alu instid0(SALU_CYCLE_1) | instskip(NEXT) | instid1(SALU_CYCLE_1)
	s_lshr_b32 s3, s3, 27
	s_add_co_i32 s2, s2, s3
	v_cmp_gt_i32_e64 s3, s14, v0
	s_lshr_b32 s2, s2, 5
	s_delay_alu instid0(SALU_CYCLE_1) | instskip(NEXT) | instid1(SALU_CYCLE_1)
	s_mul_i32 s2, s28, s2
	s_lshl_b32 s26, s2, 5
	s_delay_alu instid0(SALU_CYCLE_1) | instskip(NEXT) | instid1(SALU_CYCLE_1)
	s_lshl_b64 s[24:25], s[26:27], 2
	s_add_nc_u64 s[20:21], s[4:5], s[24:25]
	s_delay_alu instid0(SALU_CYCLE_1) | instskip(NEXT) | instid1(SALU_CYCLE_1)
	s_add_nc_u64 s[16:17], s[20:21], s[22:23]
	s_add_nc_u64 s[18:19], s[16:17], s[22:23]
	s_and_saveexec_b32 s2, s3
	s_cbranch_execz .LBB0_5
; %bb.1:
	s_clause 0x1
	s_load_b32 s26, s[0:1], 0x3c
	s_load_b128 s[8:11], s[0:1], 0x8
	v_mov_b32_e32 v1, v0
	s_wait_kmcnt 0x0
	s_and_b32 s26, s26, 0xffff
.LBB0_2:                                ; =>This Inner Loop Header: Depth=1
	global_load_b32 v2, v1, s[8:9] scale_offset
	s_wait_loadcnt 0x0
	global_store_b32 v1, v2, s[16:17] scale_offset
	s_wait_xcnt 0x0
	v_add_nc_u32_e32 v1, s26, v1
	s_delay_alu instid0(VALU_DEP_1) | instskip(SKIP_1) | instid1(SALU_CYCLE_1)
	v_cmp_le_i32_e32 vcc_lo, s14, v1
	s_or_b32 s27, vcc_lo, s27
	s_and_not1_b32 exec_lo, exec_lo, s27
	s_cbranch_execnz .LBB0_2
; %bb.3:
	s_or_b32 exec_lo, exec_lo, s27
	v_mov_b32_e32 v1, v0
	s_mov_b32 s8, 0
.LBB0_4:                                ; =>This Inner Loop Header: Depth=1
	global_load_b32 v2, v1, s[10:11] scale_offset
	s_wait_loadcnt 0x0
	global_store_b32 v1, v2, s[18:19] offset:4 scale_offset
	s_wait_xcnt 0x0
	v_add_nc_u32_e32 v1, s26, v1
	s_delay_alu instid0(VALU_DEP_1) | instskip(SKIP_1) | instid1(SALU_CYCLE_1)
	v_cmp_le_i32_e32 vcc_lo, s14, v1
	s_or_b32 s8, vcc_lo, s8
	s_and_not1_b32 exec_lo, exec_lo, s8
	s_cbranch_execnz .LBB0_4
.LBB0_5:
	s_or_b32 exec_lo, exec_lo, s2
	v_cmp_eq_u32_e64 s2, 0, v0
	s_wait_storecnt 0x0
	s_barrier_signal -1
	s_barrier_wait -1
	s_and_saveexec_b32 s10, s2
	s_cbranch_execz .LBB0_10
; %bb.6:
	s_cmp_lt_u32 s14, 2
	s_cbranch_scc1 .LBB0_9
; %bb.7:
	s_lshl_b64 s[8:9], s[14:15], 3
	s_add_co_i32 s11, s14, -1
	s_add_nc_u64 s[8:9], s[8:9], s[24:25]
	s_add_nc_u64 s[24:25], s[22:23], s[24:25]
	v_mov_b32_e32 v1, 0
	s_cvt_f32_i32 s26, s11
	s_add_nc_u64 s[8:9], s[4:5], s[8:9]
	s_add_nc_u64 s[24:25], s[4:5], s[24:25]
	;; [unrolled: 1-line block ×4, first 2 shown]
.LBB0_8:                                ; =>This Inner Loop Header: Depth=1
	s_mul_i32 s24, s28, 0x1984a2d
	s_add_co_i32 s11, s11, -1
	s_add_co_i32 s24, s24, 1
	s_delay_alu instid0(SALU_CYCLE_1) | instskip(SKIP_2) | instid1(SALU_CYCLE_3)
	s_and_b32 s28, s24, 0x7fffffff
	s_cmp_eq_u32 s11, 0
	s_cvt_f32_u32 s24, s28
	s_mul_f32 s24, s24, 0x30000000
	s_delay_alu instid0(SALU_CYCLE_3) | instskip(NEXT) | instid1(SALU_CYCLE_3)
	s_mul_f32 s24, s24, s26
	s_cvt_i32_f32 s24, s24
	s_wait_xcnt 0x0
	s_delay_alu instid0(SALU_CYCLE_2)
	v_mov_b32_e32 v2, s24
	global_load_b32 v3, v1, s[8:9]
	global_load_b32 v4, v2, s[16:17] offset:4 scale_offset
	s_wait_loadcnt 0x0
	global_store_b32 v1, v4, s[8:9]
	s_clause 0x1
	global_store_b32 v2, v3, s[16:17] offset:4 scale_offset
	global_load_b32 v3, v2, s[18:19] offset:8 scale_offset
	global_load_b32 v4, v1, s[4:5]
	s_add_nc_u64 s[8:9], s[8:9], 4
	s_wait_loadcnt 0x1
	global_store_b32 v1, v3, s[4:5]
	s_wait_xcnt 0x0
	s_add_nc_u64 s[4:5], s[4:5], 4
	s_wait_loadcnt 0x0
	global_store_b32 v2, v4, s[18:19] offset:8 scale_offset
	s_cbranch_scc0 .LBB0_8
.LBB0_9:
	v_mov_b32_e32 v1, 0
	s_add_nc_u64 s[4:5], s[18:19], s[22:23]
	s_clause 0x1
	global_load_b32 v2, v1, s[16:17]
	global_load_b32 v3, v1, s[18:19] offset:4
	s_wait_loadcnt 0x1
	global_store_b32 v1, v2, s[18:19]
	s_wait_loadcnt 0x0
	global_store_b32 v1, v3, s[4:5] offset:4
.LBB0_10:
	s_wait_xcnt 0x0
	s_or_b32 exec_lo, exec_lo, s10
	s_add_co_i32 s30, s14, -2
	s_cmp_gt_i32 s14, 2
	s_wait_storecnt 0x0
	s_barrier_signal -1
	s_barrier_wait -1
	s_load_b32 s1, s[0:1], 0x3c
	v_dual_mov_b32 v1, 0 :: v_dual_lshlrev_b32 v17, 2, v0
	s_cselect_b32 s31, -1, 0
	s_add_co_i32 s8, s14, -1
	s_mov_b64 s[4:5], 0xfffffffffffffe04
	s_ashr_i32 s9, s8, 31
	v_dual_lshlrev_b32 v18, 1, v0 :: v_dual_sub_nc_u32 v19, 0, v0
	v_add_nc_u64_e32 v[2:3], s[8:9], v[0:1]
	s_wait_xcnt 0x0
	v_cmp_gt_u32_e64 s0, 0x80, v0
	v_add_nc_u32_e32 v16, 0x600, v17
	v_mov_b32_e32 v20, 0x600
	s_add_nc_u64 s[10:11], s[18:19], s[22:23]
	s_mov_b32 s25, 0
	s_mov_b64 s[26:27], 0xfffffffffffffe00
	v_lshl_add_u64 v[2:3], v[2:3], 2, s[20:21]
	s_lshl_b64 s[28:29], s[14:15], 3
	s_add_co_i32 s15, s14, 0xffffff80
                                        ; implicit-def: $vgpr6_vgpr7
                                        ; implicit-def: $vgpr4_vgpr5
                                        ; implicit-def: $vgpr8_vgpr9
	s_wait_kmcnt 0x0
	s_and_b32 s9, s1, 0xffff
	v_add_nc_u64_e32 v[2:3], s[4:5], v[2:3]
	s_lshl_b32 s24, s9, 2
	s_branch .LBB0_12
.LBB0_11:                               ;   in Loop: Header=BB0_12 Depth=1
	s_or_b32 exec_lo, exec_lo, s1
	s_wait_dscnt 0x0
	v_cmp_gt_i32_e32 vcc_lo, 0, v12
	s_wait_storecnt 0x0
	s_barrier_signal -1
	s_barrier_wait -1
	s_cbranch_vccz .LBB0_51
.LBB0_12:                               ; =>This Loop Header: Depth=1
                                        ;     Child Loop BB0_14 Depth 2
                                        ;     Child Loop BB0_18 Depth 2
                                        ;       Child Loop BB0_22 Depth 3
                                        ;         Child Loop BB0_25 Depth 4
                                        ;         Child Loop BB0_29 Depth 4
                                        ;     Child Loop BB0_40 Depth 2
                                        ;     Child Loop BB0_49 Depth 2
	s_and_saveexec_b32 s4, s3
	s_cbranch_execz .LBB0_15
; %bb.13:                               ;   in Loop: Header=BB0_12 Depth=1
	v_mov_b32_e32 v10, v0
	s_mov_b32 s5, 0
.LBB0_14:                               ;   Parent Loop BB0_12 Depth=1
                                        ; =>  This Inner Loop Header: Depth=2
	s_delay_alu instid0(VALU_DEP_1) | instskip(NEXT) | instid1(VALU_DEP_1)
	v_ashrrev_i32_e32 v11, 31, v10
	v_lshlrev_b64_e32 v[12:13], 2, v[10:11]
	s_delay_alu instid0(VALU_DEP_1)
	v_add_nc_u64_e32 v[14:15], s[16:17], v[12:13]
	v_add_nc_u64_e32 v[12:13], s[18:19], v[12:13]
	s_clause 0x1
	global_load_b64 v[22:23], v[14:15], off
	global_load_b64 v[24:25], v[12:13], off offset:4
	s_wait_loadcnt 0x0
	s_wait_xcnt 0x0
	v_dual_mov_b32 v12, v22 :: v_dual_mov_b32 v13, v24
	v_mov_b32_e32 v24, v23
	s_delay_alu instid0(VALU_DEP_1) | instskip(NEXT) | instid1(VALU_DEP_1)
	v_pk_add_f32 v[12:13], v[12:13], v[24:25] neg_lo:[0,1] neg_hi:[0,1]
	v_pk_mul_f32 v[12:13], v[12:13], v[12:13]
	s_delay_alu instid0(VALU_DEP_1) | instskip(NEXT) | instid1(VALU_DEP_1)
	v_add_f32_e32 v11, v12, v13
	v_mul_f32_e32 v12, 0x4f800000, v11
	v_cmp_gt_f32_e32 vcc_lo, 0xf800000, v11
	s_delay_alu instid0(VALU_DEP_2) | instskip(NEXT) | instid1(VALU_DEP_1)
	v_cndmask_b32_e32 v11, v11, v12, vcc_lo
	v_sqrt_f32_e32 v12, v11
	v_nop
	s_delay_alu instid0(TRANS32_DEP_1) | instskip(NEXT) | instid1(VALU_DEP_1)
	v_dual_add_nc_u32 v13, -1, v12 :: v_dual_add_nc_u32 v14, 1, v12
	v_dual_fma_f32 v15, -v13, v12, v11 :: v_dual_fma_f32 v21, -v14, v12, v11
	s_delay_alu instid0(VALU_DEP_1) | instskip(NEXT) | instid1(VALU_DEP_1)
	v_cmp_ge_f32_e64 s1, 0, v15
	v_cndmask_b32_e64 v12, v12, v13, s1
	s_delay_alu instid0(VALU_DEP_3) | instskip(NEXT) | instid1(VALU_DEP_1)
	v_cmp_lt_f32_e64 s1, 0, v21
	v_cndmask_b32_e64 v12, v12, v14, s1
	s_delay_alu instid0(VALU_DEP_1) | instskip(NEXT) | instid1(VALU_DEP_1)
	v_mul_f32_e32 v13, 0x37800000, v12
	v_cndmask_b32_e32 v12, v12, v13, vcc_lo
	v_cmp_class_f32_e64 vcc_lo, v11, 0x260
	s_delay_alu instid0(VALU_DEP_2) | instskip(NEXT) | instid1(VALU_DEP_1)
	v_cndmask_b32_e32 v11, v12, v11, vcc_lo
	v_cvt_i32_f32_e32 v11, v11
	s_delay_alu instid0(VALU_DEP_1) | instskip(SKIP_3) | instid1(VALU_DEP_1)
	v_sub_nc_u32_e32 v11, 0, v11
	global_store_b32 v10, v11, s[20:21] scale_offset
	s_wait_xcnt 0x0
	v_add_nc_u32_e32 v10, s9, v10
	v_cmp_le_i32_e32 vcc_lo, s14, v10
	s_or_b32 s5, vcc_lo, s5
	s_delay_alu instid0(SALU_CYCLE_1)
	s_and_not1_b32 exec_lo, exec_lo, s5
	s_cbranch_execnz .LBB0_14
.LBB0_15:                               ;   in Loop: Header=BB0_12 Depth=1
	s_or_b32 exec_lo, exec_lo, s4
	s_delay_alu instid0(SALU_CYCLE_1)
	s_and_not1_b32 vcc_lo, exec_lo, s31
	s_wait_storecnt 0x0
	s_barrier_signal -1
	s_barrier_wait -1
	s_cbranch_vccnz .LBB0_33
; %bb.16:                               ;   in Loop: Header=BB0_12 Depth=1
	v_dual_mov_b32 v23, 1 :: v_dual_mov_b32 v22, 0
	v_mov_b32_e32 v21, 0
	s_mov_b32 s33, 0
	s_branch .LBB0_18
.LBB0_17:                               ;   in Loop: Header=BB0_18 Depth=2
	s_or_b32 exec_lo, exec_lo, s1
	s_add_co_i32 s33, s33, s9
	s_delay_alu instid0(SALU_CYCLE_1)
	s_cmp_ge_i32 s33, s30
	s_cbranch_scc1 .LBB0_34
.LBB0_18:                               ;   Parent Loop BB0_12 Depth=1
                                        ; =>  This Loop Header: Depth=2
                                        ;       Child Loop BB0_22 Depth 3
                                        ;         Child Loop BB0_25 Depth 4
                                        ;         Child Loop BB0_29 Depth 4
	v_add_nc_u32_e32 v10, s33, v0
	s_delay_alu instid0(VALU_DEP_1)
	v_cmp_gt_i32_e32 vcc_lo, s30, v10
	s_and_saveexec_b32 s1, vcc_lo
	s_cbranch_execz .LBB0_20
; %bb.19:                               ;   in Loop: Header=BB0_18 Depth=2
	v_ashrrev_i32_e32 v11, 31, v10
	s_delay_alu instid0(VALU_DEP_1) | instskip(NEXT) | instid1(VALU_DEP_1)
	v_lshlrev_b64_e32 v[4:5], 2, v[10:11]
	v_add_nc_u64_e32 v[6:7], s[16:17], v[4:5]
	v_add_nc_u64_e32 v[12:13], s[18:19], v[4:5]
	s_clause 0x4
	global_load_b32 v11, v10, s[20:21] scale_offset
	global_load_b64 v[14:15], v[6:7], off
	global_load_b64 v[4:5], v[12:13], off offset:4
	global_load_b32 v9, v1, s[10:11] offset:4
	global_load_b32 v8, v1, s[18:19]
	s_wait_loadcnt 0x4
	v_sub_nc_u32_e32 v22, v22, v11
	s_wait_loadcnt 0x2
	s_wait_xcnt 0x3
	v_dual_mov_b32 v6, v14 :: v_dual_mov_b32 v7, v4
	v_mov_b32_e32 v4, v15
.LBB0_20:                               ;   in Loop: Header=BB0_18 Depth=2
	s_wait_xcnt 0x0
	s_or_b32 exec_lo, exec_lo, s1
	v_mov_b64_e32 v[12:13], v[2:3]
	v_add_nc_u32_e32 v11, 2, v10
	s_add_co_i32 s34, s33, 2
	s_mov_b32 s35, s14
	s_mov_b32 s36, s15
	;; [unrolled: 1-line block ×3, first 2 shown]
	s_branch .LBB0_22
.LBB0_21:                               ;   in Loop: Header=BB0_22 Depth=3
	s_or_b32 exec_lo, exec_lo, s38
	v_add_nc_u64_e32 v[12:13], s[26:27], v[12:13]
	s_addk_co_i32 s37, 0xff80
	s_addk_co_i32 s36, 0xff80
	;; [unrolled: 1-line block ×3, first 2 shown]
	s_cmp_lt_i32 s37, s34
	s_barrier_signal -1
	s_barrier_wait -1
	s_cbranch_scc1 .LBB0_31
.LBB0_22:                               ;   Parent Loop BB0_12 Depth=1
                                        ;     Parent Loop BB0_18 Depth=2
                                        ; =>    This Loop Header: Depth=3
                                        ;         Child Loop BB0_25 Depth 4
                                        ;         Child Loop BB0_29 Depth 4
	s_and_saveexec_b32 s4, s0
	s_cbranch_execz .LBB0_27
; %bb.23:                               ;   in Loop: Header=BB0_22 Depth=3
	v_mov_b64_e32 v[14:15], v[12:13]
	v_dual_mov_b32 v24, v17 :: v_dual_mov_b32 v25, v0
	s_mov_b32 s5, 0
	s_branch .LBB0_25
.LBB0_24:                               ;   in Loop: Header=BB0_25 Depth=4
	s_wait_xcnt 0x0
	s_or_b32 exec_lo, exec_lo, s38
	v_dual_add_nc_u32 v25, s9, v25 :: v_dual_add_nc_u32 v24, s24, v24
	v_add_nc_u64_e32 v[14:15], s[24:25], v[14:15]
	s_delay_alu instid0(VALU_DEP_2) | instskip(SKIP_1) | instid1(SALU_CYCLE_1)
	v_cmp_lt_u32_e64 s1, 0x7f, v25
	s_or_b32 s5, s1, s5
	s_and_not1_b32 exec_lo, exec_lo, s5
	s_cbranch_execz .LBB0_27
.LBB0_25:                               ;   Parent Loop BB0_12 Depth=1
                                        ;     Parent Loop BB0_18 Depth=2
                                        ;       Parent Loop BB0_22 Depth=3
                                        ; =>      This Inner Loop Header: Depth=4
	s_delay_alu instid0(VALU_DEP_1) | instskip(SKIP_1) | instid1(VALU_DEP_1)
	v_add_nc_u32_e32 v26, s36, v25
	s_mov_b32 s38, exec_lo
	v_cmpx_le_i32_e64 s34, v26
	s_cbranch_execz .LBB0_24
; %bb.26:                               ;   in Loop: Header=BB0_25 Depth=4
	v_add_nc_u64_e32 v[26:27], s[22:23], v[14:15]
	v_add_nc_u64_e32 v[28:29], s[28:29], v[14:15]
	s_clause 0x2
	global_load_b32 v30, v[26:27], off
	global_load_b32 v31, v[28:29], off offset:4
	global_load_b32 v32, v[14:15], off
	s_wait_loadcnt 0x1
	ds_store_b32 v24, v31 offset:1024
	s_wait_loadcnt 0x0
	ds_store_2addr_stride64_b32 v24, v32, v30 offset1:2
	s_branch .LBB0_24
.LBB0_27:                               ;   in Loop: Header=BB0_22 Depth=3
	s_or_b32 exec_lo, exec_lo, s4
	s_delay_alu instid0(SALU_CYCLE_1)
	s_mov_b32 s38, exec_lo
	s_wait_loadcnt_dscnt 0x0
	s_barrier_signal -1
	s_barrier_wait -1
	v_cmpx_ge_i32_e64 s37, v11
	s_cbranch_execz .LBB0_21
; %bb.28:                               ;   in Loop: Header=BB0_22 Depth=3
	v_add_max_i32_e64 v24, 0xffffff81, s37, v11
	s_movk_i32 s40, 0x1fc
	s_mov_b32 s39, 0
	s_mov_b32 s41, s35
.LBB0_29:                               ;   Parent Loop BB0_12 Depth=1
                                        ;     Parent Loop BB0_18 Depth=2
                                        ;       Parent Loop BB0_22 Depth=3
                                        ; =>      This Inner Loop Header: Depth=4
	v_pk_add_f32 v[8:9], v[4:5], v[8:9] neg_lo:[0,1] neg_hi:[0,1]
	s_add_co_i32 s41, s41, -1
	s_delay_alu instid0(VALU_DEP_1) | instskip(SKIP_2) | instid1(VALU_DEP_2)
	v_pk_mul_f32 v[8:9], v[8:9], v[8:9]
	v_mov_b32_e32 v14, s40
	s_add_co_i32 s40, s40, -4
	v_add_f32_e32 v8, v8, v9
	ds_load_2addr_stride64_b32 v[26:27], v14 offset1:2
	ds_load_b32 v15, v14 offset:1024
	v_cmp_gt_f32_e64 s1, 0xf800000, v8
	s_wait_dscnt 0x1
	v_mov_b32_e32 v14, v27
	s_wait_dscnt 0x0
	s_delay_alu instid0(VALU_DEP_1) | instskip(NEXT) | instid1(VALU_DEP_1)
	v_pk_add_f32 v[28:29], v[6:7], v[14:15] neg_lo:[0,1] neg_hi:[0,1]
	v_pk_mul_f32 v[28:29], v[28:29], v[28:29]
	s_delay_alu instid0(VALU_DEP_1) | instskip(NEXT) | instid1(VALU_DEP_1)
	v_add_f32_e32 v9, v28, v29
	v_mul_f32_e32 v27, 0x4f800000, v9
	v_cmp_gt_f32_e64 s4, 0xf800000, v9
	s_delay_alu instid0(VALU_DEP_1) | instskip(NEXT) | instid1(VALU_DEP_1)
	v_cndmask_b32_e64 v9, v9, v27, s4
	v_sqrt_f32_e32 v27, v9
	v_nop
	s_delay_alu instid0(TRANS32_DEP_1) | instskip(NEXT) | instid1(VALU_DEP_1)
	v_dual_mul_f32 v25, 0x4f800000, v8 :: v_dual_add_nc_u32 v30, -1, v27
	v_cndmask_b32_e64 v8, v8, v25, s1
	s_delay_alu instid0(VALU_DEP_1) | instskip(SKIP_1) | instid1(TRANS32_DEP_1)
	v_sqrt_f32_e32 v25, v8
	v_nop
	v_dual_add_nc_u32 v28, -1, v25 :: v_dual_add_nc_u32 v29, 1, v25
	v_dual_add_nc_u32 v33, 1, v27 :: v_dual_fma_f32 v34, -v30, v27, v9
	s_delay_alu instid0(VALU_DEP_2) | instskip(NEXT) | instid1(VALU_DEP_1)
	v_dual_fma_f32 v31, -v28, v25, v8 :: v_dual_fma_f32 v32, -v29, v25, v8
	v_cmp_ge_f32_e64 s5, 0, v31
	s_delay_alu instid0(VALU_DEP_1) | instskip(NEXT) | instid1(VALU_DEP_4)
	v_cndmask_b32_e64 v25, v25, v28, s5
	v_cmp_ge_f32_e64 s5, 0, v34
	s_delay_alu instid0(VALU_DEP_1) | instskip(SKIP_1) | instid1(VALU_DEP_1)
	v_dual_fma_f32 v28, -v33, v27, v9 :: v_dual_cndmask_b32 v27, v27, v30, s5
	v_cmp_lt_f32_e64 s5, 0, v32
	v_cndmask_b32_e64 v25, v25, v29, s5
	s_delay_alu instid0(VALU_DEP_3) | instskip(NEXT) | instid1(VALU_DEP_1)
	v_cmp_lt_f32_e64 s5, 0, v28
	v_cndmask_b32_e64 v27, v27, v33, s5
	s_delay_alu instid0(VALU_DEP_1) | instskip(NEXT) | instid1(VALU_DEP_1)
	v_mul_f32_e32 v29, 0x37800000, v27
	v_cndmask_b32_e64 v27, v27, v29, s4
	v_mul_f32_e32 v28, 0x37800000, v25
	v_cmp_le_i32_e64 s4, s41, v24
	s_delay_alu instid0(VALU_DEP_2) | instskip(SKIP_4) | instid1(VALU_DEP_2)
	v_cndmask_b32_e64 v25, v25, v28, s1
	v_cmp_class_f32_e64 s1, v8, 0x260
	s_or_b32 s39, s4, s39
	v_cndmask_b32_e64 v8, v25, v8, s1
	v_cmp_class_f32_e64 s1, v9, 0x260
	v_cvt_i32_f32_e32 v8, v8
	s_delay_alu instid0(VALU_DEP_2) | instskip(NEXT) | instid1(VALU_DEP_1)
	v_cndmask_b32_e64 v9, v27, v9, s1
	v_cvt_i32_f32_e32 v9, v9
	s_delay_alu instid0(VALU_DEP_1) | instskip(SKIP_1) | instid1(VALU_DEP_2)
	v_add3_u32 v25, v26, v8, v9
	v_mov_b64_e32 v[8:9], v[14:15]
	v_cmp_gt_i32_e64 s1, v22, v25
	v_min_i32_e32 v22, v22, v25
	s_delay_alu instid0(VALU_DEP_2)
	v_cndmask_b32_e64 v21, v21, s41, s1
	v_cndmask_b32_e64 v23, v23, v10, s1
	s_and_not1_b32 exec_lo, exec_lo, s39
	s_cbranch_execnz .LBB0_29
; %bb.30:                               ;   in Loop: Header=BB0_22 Depth=3
	s_or_b32 exec_lo, exec_lo, s39
	v_mov_b64_e32 v[8:9], v[14:15]
	s_branch .LBB0_21
.LBB0_31:                               ;   in Loop: Header=BB0_18 Depth=2
	s_and_saveexec_b32 s1, vcc_lo
	s_cbranch_execz .LBB0_17
; %bb.32:                               ;   in Loop: Header=BB0_18 Depth=2
	global_load_b32 v10, v10, s[20:21] scale_offset
	s_wait_loadcnt 0x0
	v_add_nc_u32_e32 v22, v10, v22
	s_branch .LBB0_17
.LBB0_33:                               ;   in Loop: Header=BB0_12 Depth=1
	v_dual_mov_b32 v10, 2 :: v_dual_mov_b32 v21, 0
	v_mov_b32_e32 v22, 0
	s_branch .LBB0_35
.LBB0_34:                               ;   in Loop: Header=BB0_12 Depth=1
	v_add_nc_u32_e32 v10, 1, v23
.LBB0_35:                               ;   in Loop: Header=BB0_12 Depth=1
	s_barrier_signal -1
	s_barrier_wait -1
	ds_store_b32 v16, v22
	s_and_saveexec_b32 s1, s2
	s_cbranch_execz .LBB0_38
; %bb.36:                               ;   in Loop: Header=BB0_12 Depth=1
	s_mov_b32 s4, exec_lo
	s_delay_alu instid0(SALU_CYCLE_1) | instskip(NEXT) | instid1(VALU_DEP_1)
	v_mbcnt_lo_u32_b32 v11, s4, 0
	v_cmp_eq_u32_e32 vcc_lo, 0, v11
	s_and_b32 s5, exec_lo, vcc_lo
	s_delay_alu instid0(SALU_CYCLE_1)
	s_mov_b32 exec_lo, s5
	s_cbranch_execz .LBB0_38
; %bb.37:                               ;   in Loop: Header=BB0_12 Depth=1
	s_bcnt1_i32_b32 s4, s4
	s_delay_alu instid0(SALU_CYCLE_1)
	v_mov_b32_e32 v11, s4
	global_atomic_add_u32 v1, v11, s[6:7] scope:SCOPE_DEV
.LBB0_38:                               ;   in Loop: Header=BB0_12 Depth=1
	s_wait_xcnt 0x0
	s_or_b32 exec_lo, exec_lo, s1
	v_mov_b32_e32 v11, v22
	s_mov_b32 s1, s9
	s_wait_storecnt_dscnt 0x0
	s_barrier_signal -1
	s_barrier_wait -1
	s_branch .LBB0_40
.LBB0_39:                               ;   in Loop: Header=BB0_40 Depth=2
	s_or_b32 exec_lo, exec_lo, s5
	s_cmp_gt_u32 s1, 2
	s_mov_b32 s1, s4
	s_wait_dscnt 0x0
	s_barrier_signal -1
	s_barrier_wait -1
	s_cbranch_scc0 .LBB0_42
.LBB0_40:                               ;   Parent Loop BB0_12 Depth=1
                                        ; =>  This Inner Loop Header: Depth=2
	s_add_co_i32 s4, s1, 1
	s_mov_b32 s5, exec_lo
	s_lshr_b32 s4, s4, 1
	s_delay_alu instid0(SALU_CYCLE_1) | instskip(NEXT) | instid1(VALU_DEP_1)
	v_add_nc_u32_e32 v12, s4, v0
	v_cmpx_gt_u32_e64 s1, v12
	s_cbranch_execz .LBB0_39
; %bb.41:                               ;   in Loop: Header=BB0_40 Depth=2
	v_lshl_add_u32 v12, s4, 2, v16
	ds_load_b32 v12, v12
	s_wait_dscnt 0x0
	v_min_i32_e32 v11, v11, v12
	ds_store_b32 v16, v11
	s_branch .LBB0_39
.LBB0_42:                               ;   in Loop: Header=BB0_12 Depth=1
	ds_load_b32 v11, v20
	s_mov_b32 s1, exec_lo
	s_wait_dscnt 0x0
	v_cmpx_eq_u32_e64 v22, v11
; %bb.43:                               ;   in Loop: Header=BB0_12 Depth=1
	ds_store_b32 v20, v0 offset:4
; %bb.44:                               ;   in Loop: Header=BB0_12 Depth=1
	s_or_b32 exec_lo, exec_lo, s1
	s_wait_dscnt 0x0
	s_barrier_signal -1
	s_barrier_wait -1
	ds_load_b32 v11, v20 offset:4
	s_mov_b32 s1, exec_lo
	s_wait_dscnt 0x0
	v_cmpx_eq_u32_e64 v0, v11
; %bb.45:                               ;   in Loop: Header=BB0_12 Depth=1
	ds_store_2addr_b32 v20, v10, v21 offset0:2 offset1:3
; %bb.46:                               ;   in Loop: Header=BB0_12 Depth=1
	s_or_b32 exec_lo, exec_lo, s1
	s_wait_dscnt 0x0
	s_barrier_signal -1
	s_barrier_wait -1
	ds_load_2addr_b32 v[10:11], v20 offset0:2 offset1:3
	ds_load_b32 v12, v20
	s_mov_b32 s1, exec_lo
	s_wait_dscnt 0x1
	v_add_nc_u32_e32 v13, v11, v10
	s_delay_alu instid0(VALU_DEP_1)
	v_cmpx_lt_i32_e64 v18, v13
	s_cbranch_execz .LBB0_11
; %bb.47:                               ;   in Loop: Header=BB0_12 Depth=1
	v_add3_u32 v11, v11, v10, v19
	v_mov_b32_e32 v14, v0
	s_mov_b32 s4, 0
	s_branch .LBB0_49
.LBB0_48:                               ;   in Loop: Header=BB0_49 Depth=2
	s_wait_xcnt 0x0
	s_or_b32 exec_lo, exec_lo, s5
	v_add_nc_u32_e32 v14, s9, v14
	v_subrev_nc_u32_e32 v11, s9, v11
	s_delay_alu instid0(VALU_DEP_2) | instskip(NEXT) | instid1(VALU_DEP_1)
	v_lshlrev_b32_e32 v15, 1, v14
	v_cmp_ge_i32_e32 vcc_lo, v15, v13
	s_or_b32 s4, vcc_lo, s4
	s_delay_alu instid0(SALU_CYCLE_1)
	s_and_not1_b32 exec_lo, exec_lo, s4
	s_cbranch_execz .LBB0_11
.LBB0_49:                               ;   Parent Loop BB0_12 Depth=1
                                        ; =>  This Inner Loop Header: Depth=2
	s_mov_b32 s5, exec_lo
	s_delay_alu instid0(VALU_DEP_1)
	v_cmpx_le_i32_e64 v10, v14
	s_cbranch_execz .LBB0_48
; %bb.50:                               ;   in Loop: Header=BB0_49 Depth=2
	s_clause 0x1
	global_load_b32 v15, v11, s[16:17] scale_offset
	global_load_b32 v21, v14, s[16:17] scale_offset
	s_wait_loadcnt 0x1
	global_store_b32 v14, v15, s[16:17] scale_offset
	s_wait_loadcnt 0x0
	s_clause 0x2
	global_store_b32 v11, v21, s[16:17] scale_offset
	global_load_b32 v15, v11, s[18:19] offset:4 scale_offset
	global_load_b32 v21, v14, s[18:19] offset:4 scale_offset
	s_wait_loadcnt 0x1
	global_store_b32 v14, v15, s[18:19] offset:4 scale_offset
	s_wait_loadcnt 0x0
	global_store_b32 v11, v21, s[18:19] offset:4 scale_offset
	s_branch .LBB0_48
.LBB0_51:
	v_mov_b32_e32 v1, 0
	s_and_saveexec_b32 s1, s3
	s_cbranch_execz .LBB0_55
; %bb.52:
	v_dual_mov_b32 v1, 0 :: v_dual_mov_b32 v2, v0
	s_mov_b32 s3, 0
.LBB0_53:                               ; =>This Inner Loop Header: Depth=1
	s_delay_alu instid0(VALU_DEP_1) | instskip(NEXT) | instid1(VALU_DEP_1)
	v_ashrrev_i32_e32 v3, 31, v2
	v_lshlrev_b64_e32 v[4:5], 2, v[2:3]
	v_add_nc_u32_e32 v2, s9, v2
	s_delay_alu instid0(VALU_DEP_2)
	v_add_nc_u64_e32 v[6:7], s[16:17], v[4:5]
	v_add_nc_u64_e32 v[4:5], s[18:19], v[4:5]
	s_clause 0x1
	global_load_b64 v[8:9], v[6:7], off
	global_load_b64 v[10:11], v[4:5], off offset:4
	s_wait_loadcnt 0x0
	v_dual_mov_b32 v4, v8 :: v_dual_mov_b32 v5, v10
	v_mov_b32_e32 v10, v9
	s_delay_alu instid0(VALU_DEP_1) | instskip(NEXT) | instid1(VALU_DEP_1)
	v_pk_add_f32 v[4:5], v[4:5], v[10:11] neg_lo:[0,1] neg_hi:[0,1]
	v_pk_mul_f32 v[4:5], v[4:5], v[4:5]
	s_delay_alu instid0(VALU_DEP_1) | instskip(NEXT) | instid1(VALU_DEP_1)
	v_add_f32_e32 v3, v4, v5
	v_mul_f32_e32 v4, 0x4f800000, v3
	v_cmp_gt_f32_e32 vcc_lo, 0xf800000, v3
	s_delay_alu instid0(VALU_DEP_2) | instskip(NEXT) | instid1(VALU_DEP_1)
	v_cndmask_b32_e32 v3, v3, v4, vcc_lo
	v_sqrt_f32_e32 v4, v3
	v_nop
	s_delay_alu instid0(TRANS32_DEP_1) | instskip(NEXT) | instid1(VALU_DEP_1)
	v_dual_add_nc_u32 v5, -1, v4 :: v_dual_add_nc_u32 v6, 1, v4
	v_dual_fma_f32 v7, -v5, v4, v3 :: v_dual_fma_f32 v8, -v6, v4, v3
	s_delay_alu instid0(VALU_DEP_1) | instskip(NEXT) | instid1(VALU_DEP_1)
	v_cmp_ge_f32_e64 s0, 0, v7
	v_cndmask_b32_e64 v4, v4, v5, s0
	s_delay_alu instid0(VALU_DEP_3) | instskip(NEXT) | instid1(VALU_DEP_1)
	v_cmp_lt_f32_e64 s0, 0, v8
	v_cndmask_b32_e64 v4, v4, v6, s0
	s_delay_alu instid0(VALU_DEP_1) | instskip(NEXT) | instid1(VALU_DEP_1)
	v_mul_f32_e32 v5, 0x37800000, v4
	v_cndmask_b32_e32 v4, v4, v5, vcc_lo
	v_cmp_class_f32_e64 vcc_lo, v3, 0x260
	s_delay_alu instid0(VALU_DEP_2) | instskip(SKIP_1) | instid1(VALU_DEP_2)
	v_cndmask_b32_e32 v3, v4, v3, vcc_lo
	v_cmp_le_i32_e32 vcc_lo, s14, v2
	v_cvt_i32_f32_e32 v3, v3
	s_or_b32 s3, vcc_lo, s3
	s_delay_alu instid0(VALU_DEP_1)
	v_add_nc_u32_e32 v1, v1, v3
	s_and_not1_b32 exec_lo, exec_lo, s3
	s_cbranch_execnz .LBB0_53
; %bb.54:
	s_or_b32 exec_lo, exec_lo, s3
.LBB0_55:
	s_delay_alu instid0(SALU_CYCLE_1)
	s_or_b32 exec_lo, exec_lo, s1
	ds_store_b32 v16, v1
	s_wait_dscnt 0x0
	s_barrier_signal -1
	s_barrier_wait -1
.LBB0_56:                               ; =>This Inner Loop Header: Depth=1
	s_add_co_i32 s0, s9, 1
	s_delay_alu instid0(SALU_CYCLE_1) | instskip(NEXT) | instid1(SALU_CYCLE_1)
	s_lshr_b32 s0, s0, 1
	v_add_nc_u32_e32 v2, s0, v0
	s_delay_alu instid0(VALU_DEP_1)
	v_cmp_gt_u32_e32 vcc_lo, s9, v2
	s_and_saveexec_b32 s1, vcc_lo
	s_cbranch_execz .LBB0_58
; %bb.57:                               ;   in Loop: Header=BB0_56 Depth=1
	v_lshl_add_u32 v2, s0, 2, v16
	ds_load_b32 v2, v2
	s_wait_dscnt 0x0
	v_add_nc_u32_e32 v1, v2, v1
.LBB0_58:                               ;   in Loop: Header=BB0_56 Depth=1
	s_or_b32 exec_lo, exec_lo, s1
	s_barrier_signal -1
	s_barrier_wait -1
	s_and_saveexec_b32 s1, vcc_lo
; %bb.59:                               ;   in Loop: Header=BB0_56 Depth=1
	ds_store_b32 v16, v1
; %bb.60:                               ;   in Loop: Header=BB0_56 Depth=1
	s_or_b32 exec_lo, exec_lo, s1
	s_cmp_gt_u32 s9, 2
	s_wait_dscnt 0x0
	s_barrier_signal -1
	s_barrier_wait -1
	s_cbranch_scc0 .LBB0_62
; %bb.61:                               ;   in Loop: Header=BB0_56 Depth=1
	s_mov_b32 s9, s0
	s_branch .LBB0_56
.LBB0_62:
	s_and_saveexec_b32 s0, s2
	s_cbranch_execz .LBB0_67
; %bb.63:
	s_mov_b32 s1, exec_lo
	s_brev_b32 s0, -2
.LBB0_64:                               ; =>This Inner Loop Header: Depth=1
	s_ctz_i32_b32 s2, s1
	s_delay_alu instid0(SALU_CYCLE_1) | instskip(SKIP_1) | instid1(SALU_CYCLE_1)
	v_readlane_b32 s3, v1, s2
	s_lshl_b32 s2, 1, s2
	s_and_not1_b32 s1, s1, s2
	s_min_i32 s0, s0, s3
	s_cmp_lg_u32 s1, 0
	s_cbranch_scc1 .LBB0_64
; %bb.65:
	v_mbcnt_lo_u32_b32 v0, exec_lo, 0
	s_mov_b32 s1, exec_lo
	s_delay_alu instid0(VALU_DEP_1)
	v_cmpx_eq_u32_e32 0, v0
	s_xor_b32 s1, exec_lo, s1
	s_cbranch_execz .LBB0_67
; %bb.66:
	v_dual_mov_b32 v0, 0 :: v_dual_mov_b32 v1, s0
	global_atomic_min_i32 v0, v1, s[12:13] scope:SCOPE_DEV
.LBB0_67:
	s_endpgm
	.section	.rodata,"a",@progbits
	.p2align	6, 0x0
	.amdhsa_kernel _Z6TwoOptiPKfS0_PiS1_S1_
		.amdhsa_group_segment_fixed_size 1536
		.amdhsa_private_segment_fixed_size 0
		.amdhsa_kernarg_size 304
		.amdhsa_user_sgpr_count 2
		.amdhsa_user_sgpr_dispatch_ptr 0
		.amdhsa_user_sgpr_queue_ptr 0
		.amdhsa_user_sgpr_kernarg_segment_ptr 1
		.amdhsa_user_sgpr_dispatch_id 0
		.amdhsa_user_sgpr_kernarg_preload_length 0
		.amdhsa_user_sgpr_kernarg_preload_offset 0
		.amdhsa_user_sgpr_private_segment_size 0
		.amdhsa_wavefront_size32 1
		.amdhsa_uses_dynamic_stack 0
		.amdhsa_enable_private_segment 0
		.amdhsa_system_sgpr_workgroup_id_x 1
		.amdhsa_system_sgpr_workgroup_id_y 0
		.amdhsa_system_sgpr_workgroup_id_z 0
		.amdhsa_system_sgpr_workgroup_info 0
		.amdhsa_system_vgpr_workitem_id 0
		.amdhsa_next_free_vgpr 35
		.amdhsa_next_free_sgpr 42
		.amdhsa_named_barrier_count 0
		.amdhsa_reserve_vcc 1
		.amdhsa_float_round_mode_32 0
		.amdhsa_float_round_mode_16_64 0
		.amdhsa_float_denorm_mode_32 3
		.amdhsa_float_denorm_mode_16_64 3
		.amdhsa_fp16_overflow 0
		.amdhsa_memory_ordered 1
		.amdhsa_forward_progress 1
		.amdhsa_inst_pref_size 26
		.amdhsa_round_robin_scheduling 0
		.amdhsa_exception_fp_ieee_invalid_op 0
		.amdhsa_exception_fp_denorm_src 0
		.amdhsa_exception_fp_ieee_div_zero 0
		.amdhsa_exception_fp_ieee_overflow 0
		.amdhsa_exception_fp_ieee_underflow 0
		.amdhsa_exception_fp_ieee_inexact 0
		.amdhsa_exception_int_div_zero 0
	.end_amdhsa_kernel
	.text
.Lfunc_end0:
	.size	_Z6TwoOptiPKfS0_PiS1_S1_, .Lfunc_end0-_Z6TwoOptiPKfS0_PiS1_S1_
                                        ; -- End function
	.set _Z6TwoOptiPKfS0_PiS1_S1_.num_vgpr, 35
	.set _Z6TwoOptiPKfS0_PiS1_S1_.num_agpr, 0
	.set _Z6TwoOptiPKfS0_PiS1_S1_.numbered_sgpr, 42
	.set _Z6TwoOptiPKfS0_PiS1_S1_.num_named_barrier, 0
	.set _Z6TwoOptiPKfS0_PiS1_S1_.private_seg_size, 0
	.set _Z6TwoOptiPKfS0_PiS1_S1_.uses_vcc, 1
	.set _Z6TwoOptiPKfS0_PiS1_S1_.uses_flat_scratch, 0
	.set _Z6TwoOptiPKfS0_PiS1_S1_.has_dyn_sized_stack, 0
	.set _Z6TwoOptiPKfS0_PiS1_S1_.has_recursion, 0
	.set _Z6TwoOptiPKfS0_PiS1_S1_.has_indirect_call, 0
	.section	.AMDGPU.csdata,"",@progbits
; Kernel info:
; codeLenInByte = 3304
; TotalNumSgprs: 44
; NumVgprs: 35
; ScratchSize: 0
; MemoryBound: 0
; FloatMode: 240
; IeeeMode: 1
; LDSByteSize: 1536 bytes/workgroup (compile time only)
; SGPRBlocks: 0
; VGPRBlocks: 2
; NumSGPRsForWavesPerEU: 44
; NumVGPRsForWavesPerEU: 35
; NamedBarCnt: 0
; Occupancy: 16
; WaveLimiterHint : 0
; COMPUTE_PGM_RSRC2:SCRATCH_EN: 0
; COMPUTE_PGM_RSRC2:USER_SGPR: 2
; COMPUTE_PGM_RSRC2:TRAP_HANDLER: 0
; COMPUTE_PGM_RSRC2:TGID_X_EN: 1
; COMPUTE_PGM_RSRC2:TGID_Y_EN: 0
; COMPUTE_PGM_RSRC2:TGID_Z_EN: 0
; COMPUTE_PGM_RSRC2:TIDIG_COMP_CNT: 0
	.text
	.p2alignl 7, 3214868480
	.fill 96, 4, 3214868480
	.section	.AMDGPU.gpr_maximums,"",@progbits
	.set amdgpu.max_num_vgpr, 0
	.set amdgpu.max_num_agpr, 0
	.set amdgpu.max_num_sgpr, 0
	.text
	.type	__hip_cuid_fc0a3bc1d3c386ff,@object ; @__hip_cuid_fc0a3bc1d3c386ff
	.section	.bss,"aw",@nobits
	.globl	__hip_cuid_fc0a3bc1d3c386ff
__hip_cuid_fc0a3bc1d3c386ff:
	.byte	0                               ; 0x0
	.size	__hip_cuid_fc0a3bc1d3c386ff, 1

	.ident	"AMD clang version 22.0.0git (https://github.com/RadeonOpenCompute/llvm-project roc-7.2.4 26084 f58b06dce1f9c15707c5f808fd002e18c2accf7e)"
	.section	".note.GNU-stack","",@progbits
	.addrsig
	.addrsig_sym __hip_cuid_fc0a3bc1d3c386ff
	.amdgpu_metadata
---
amdhsa.kernels:
  - .args:
      - .offset:         0
        .size:           4
        .value_kind:     by_value
      - .actual_access:  read_only
        .address_space:  global
        .offset:         8
        .size:           8
        .value_kind:     global_buffer
      - .actual_access:  read_only
        .address_space:  global
        .offset:         16
        .size:           8
        .value_kind:     global_buffer
      - .address_space:  global
        .offset:         24
        .size:           8
        .value_kind:     global_buffer
      - .address_space:  global
        .offset:         32
        .size:           8
        .value_kind:     global_buffer
      - .address_space:  global
        .offset:         40
        .size:           8
        .value_kind:     global_buffer
      - .offset:         48
        .size:           4
        .value_kind:     hidden_block_count_x
      - .offset:         52
        .size:           4
        .value_kind:     hidden_block_count_y
      - .offset:         56
        .size:           4
        .value_kind:     hidden_block_count_z
      - .offset:         60
        .size:           2
        .value_kind:     hidden_group_size_x
      - .offset:         62
        .size:           2
        .value_kind:     hidden_group_size_y
      - .offset:         64
        .size:           2
        .value_kind:     hidden_group_size_z
      - .offset:         66
        .size:           2
        .value_kind:     hidden_remainder_x
      - .offset:         68
        .size:           2
        .value_kind:     hidden_remainder_y
      - .offset:         70
        .size:           2
        .value_kind:     hidden_remainder_z
      - .offset:         88
        .size:           8
        .value_kind:     hidden_global_offset_x
      - .offset:         96
        .size:           8
        .value_kind:     hidden_global_offset_y
      - .offset:         104
        .size:           8
        .value_kind:     hidden_global_offset_z
      - .offset:         112
        .size:           2
        .value_kind:     hidden_grid_dims
      - .offset:         168
        .size:           4
        .value_kind:     hidden_dynamic_lds_size
    .group_segment_fixed_size: 1536
    .kernarg_segment_align: 8
    .kernarg_segment_size: 304
    .language:       OpenCL C
    .language_version:
      - 2
      - 0
    .max_flat_workgroup_size: 1024
    .name:           _Z6TwoOptiPKfS0_PiS1_S1_
    .private_segment_fixed_size: 0
    .sgpr_count:     44
    .sgpr_spill_count: 0
    .symbol:         _Z6TwoOptiPKfS0_PiS1_S1_.kd
    .uniform_work_group_size: 1
    .uses_dynamic_stack: false
    .vgpr_count:     35
    .vgpr_spill_count: 0
    .wavefront_size: 32
amdhsa.target:   amdgcn-amd-amdhsa--gfx1250
amdhsa.version:
  - 1
  - 2
...

	.end_amdgpu_metadata
